;; amdgpu-corpus repo=ROCm/rocFFT kind=compiled arch=gfx1201 opt=O3
	.text
	.amdgcn_target "amdgcn-amd-amdhsa--gfx1201"
	.amdhsa_code_object_version 6
	.protected	fft_rtc_fwd_len484_factors_4_11_11_wgs_44_tpt_44_half_ip_CI_unitstride_sbrr_R2C_dirReg ; -- Begin function fft_rtc_fwd_len484_factors_4_11_11_wgs_44_tpt_44_half_ip_CI_unitstride_sbrr_R2C_dirReg
	.globl	fft_rtc_fwd_len484_factors_4_11_11_wgs_44_tpt_44_half_ip_CI_unitstride_sbrr_R2C_dirReg
	.p2align	8
	.type	fft_rtc_fwd_len484_factors_4_11_11_wgs_44_tpt_44_half_ip_CI_unitstride_sbrr_R2C_dirReg,@function
fft_rtc_fwd_len484_factors_4_11_11_wgs_44_tpt_44_half_ip_CI_unitstride_sbrr_R2C_dirReg: ; @fft_rtc_fwd_len484_factors_4_11_11_wgs_44_tpt_44_half_ip_CI_unitstride_sbrr_R2C_dirReg
; %bb.0:
	s_clause 0x2
	s_load_b128 s[4:7], s[0:1], 0x0
	s_load_b64 s[8:9], s[0:1], 0x50
	s_load_b64 s[10:11], s[0:1], 0x18
	v_mul_u32_u24_e32 v1, 0x5d2, v0
	v_mov_b32_e32 v3, 0
	s_delay_alu instid0(VALU_DEP_2) | instskip(NEXT) | instid1(VALU_DEP_1)
	v_lshrrev_b32_e32 v1, 16, v1
	v_add_nc_u32_e32 v5, ttmp9, v1
	v_mov_b32_e32 v1, 0
	v_mov_b32_e32 v2, 0
	;; [unrolled: 1-line block ×3, first 2 shown]
	s_wait_kmcnt 0x0
	v_cmp_lt_u64_e64 s2, s[6:7], 2
	s_delay_alu instid0(VALU_DEP_1)
	s_and_b32 vcc_lo, exec_lo, s2
	s_cbranch_vccnz .LBB0_8
; %bb.1:
	s_load_b64 s[2:3], s[0:1], 0x10
	v_mov_b32_e32 v1, 0
	v_mov_b32_e32 v2, 0
	s_add_nc_u64 s[12:13], s[10:11], 8
	s_mov_b64 s[14:15], 1
	s_wait_kmcnt 0x0
	s_add_nc_u64 s[16:17], s[2:3], 8
	s_mov_b32 s3, 0
.LBB0_2:                                ; =>This Inner Loop Header: Depth=1
	s_load_b64 s[18:19], s[16:17], 0x0
                                        ; implicit-def: $vgpr9_vgpr10
	s_mov_b32 s2, exec_lo
	s_wait_kmcnt 0x0
	v_or_b32_e32 v4, s19, v6
	s_delay_alu instid0(VALU_DEP_1)
	v_cmpx_ne_u64_e32 0, v[3:4]
	s_wait_alu 0xfffe
	s_xor_b32 s20, exec_lo, s2
	s_cbranch_execz .LBB0_4
; %bb.3:                                ;   in Loop: Header=BB0_2 Depth=1
	s_cvt_f32_u32 s2, s18
	s_cvt_f32_u32 s21, s19
	s_sub_nc_u64 s[24:25], 0, s[18:19]
	s_wait_alu 0xfffe
	s_delay_alu instid0(SALU_CYCLE_1) | instskip(SKIP_1) | instid1(SALU_CYCLE_2)
	s_fmamk_f32 s2, s21, 0x4f800000, s2
	s_wait_alu 0xfffe
	v_s_rcp_f32 s2, s2
	s_delay_alu instid0(TRANS32_DEP_1) | instskip(SKIP_1) | instid1(SALU_CYCLE_2)
	s_mul_f32 s2, s2, 0x5f7ffffc
	s_wait_alu 0xfffe
	s_mul_f32 s21, s2, 0x2f800000
	s_wait_alu 0xfffe
	s_delay_alu instid0(SALU_CYCLE_2) | instskip(SKIP_1) | instid1(SALU_CYCLE_2)
	s_trunc_f32 s21, s21
	s_wait_alu 0xfffe
	s_fmamk_f32 s2, s21, 0xcf800000, s2
	s_cvt_u32_f32 s23, s21
	s_wait_alu 0xfffe
	s_delay_alu instid0(SALU_CYCLE_1) | instskip(SKIP_1) | instid1(SALU_CYCLE_2)
	s_cvt_u32_f32 s22, s2
	s_wait_alu 0xfffe
	s_mul_u64 s[26:27], s[24:25], s[22:23]
	s_wait_alu 0xfffe
	s_mul_hi_u32 s29, s22, s27
	s_mul_i32 s28, s22, s27
	s_mul_hi_u32 s2, s22, s26
	s_mul_i32 s30, s23, s26
	s_wait_alu 0xfffe
	s_add_nc_u64 s[28:29], s[2:3], s[28:29]
	s_mul_hi_u32 s21, s23, s26
	s_mul_hi_u32 s31, s23, s27
	s_add_co_u32 s2, s28, s30
	s_wait_alu 0xfffe
	s_add_co_ci_u32 s2, s29, s21
	s_mul_i32 s26, s23, s27
	s_add_co_ci_u32 s27, s31, 0
	s_wait_alu 0xfffe
	s_add_nc_u64 s[26:27], s[2:3], s[26:27]
	s_wait_alu 0xfffe
	v_add_co_u32 v4, s2, s22, s26
	s_delay_alu instid0(VALU_DEP_1) | instskip(SKIP_1) | instid1(VALU_DEP_1)
	s_cmp_lg_u32 s2, 0
	s_add_co_ci_u32 s23, s23, s27
	v_readfirstlane_b32 s22, v4
	s_wait_alu 0xfffe
	s_delay_alu instid0(VALU_DEP_1)
	s_mul_u64 s[24:25], s[24:25], s[22:23]
	s_wait_alu 0xfffe
	s_mul_hi_u32 s27, s22, s25
	s_mul_i32 s26, s22, s25
	s_mul_hi_u32 s2, s22, s24
	s_mul_i32 s28, s23, s24
	s_wait_alu 0xfffe
	s_add_nc_u64 s[26:27], s[2:3], s[26:27]
	s_mul_hi_u32 s21, s23, s24
	s_mul_hi_u32 s22, s23, s25
	s_wait_alu 0xfffe
	s_add_co_u32 s2, s26, s28
	s_add_co_ci_u32 s2, s27, s21
	s_mul_i32 s24, s23, s25
	s_add_co_ci_u32 s25, s22, 0
	s_wait_alu 0xfffe
	s_add_nc_u64 s[24:25], s[2:3], s[24:25]
	s_wait_alu 0xfffe
	v_add_co_u32 v4, s2, v4, s24
	s_delay_alu instid0(VALU_DEP_1) | instskip(SKIP_1) | instid1(VALU_DEP_1)
	s_cmp_lg_u32 s2, 0
	s_add_co_ci_u32 s2, s23, s25
	v_mul_hi_u32 v13, v5, v4
	s_wait_alu 0xfffe
	v_mad_co_u64_u32 v[7:8], null, v5, s2, 0
	v_mad_co_u64_u32 v[9:10], null, v6, v4, 0
	;; [unrolled: 1-line block ×3, first 2 shown]
	s_delay_alu instid0(VALU_DEP_3) | instskip(SKIP_1) | instid1(VALU_DEP_4)
	v_add_co_u32 v4, vcc_lo, v13, v7
	s_wait_alu 0xfffd
	v_add_co_ci_u32_e32 v7, vcc_lo, 0, v8, vcc_lo
	s_delay_alu instid0(VALU_DEP_2) | instskip(SKIP_1) | instid1(VALU_DEP_2)
	v_add_co_u32 v4, vcc_lo, v4, v9
	s_wait_alu 0xfffd
	v_add_co_ci_u32_e32 v4, vcc_lo, v7, v10, vcc_lo
	s_wait_alu 0xfffd
	v_add_co_ci_u32_e32 v7, vcc_lo, 0, v12, vcc_lo
	s_delay_alu instid0(VALU_DEP_2) | instskip(SKIP_1) | instid1(VALU_DEP_2)
	v_add_co_u32 v4, vcc_lo, v4, v11
	s_wait_alu 0xfffd
	v_add_co_ci_u32_e32 v9, vcc_lo, 0, v7, vcc_lo
	s_delay_alu instid0(VALU_DEP_2) | instskip(SKIP_1) | instid1(VALU_DEP_3)
	v_mul_lo_u32 v10, s19, v4
	v_mad_co_u64_u32 v[7:8], null, s18, v4, 0
	v_mul_lo_u32 v11, s18, v9
	s_delay_alu instid0(VALU_DEP_2) | instskip(NEXT) | instid1(VALU_DEP_2)
	v_sub_co_u32 v7, vcc_lo, v5, v7
	v_add3_u32 v8, v8, v11, v10
	s_delay_alu instid0(VALU_DEP_1) | instskip(SKIP_1) | instid1(VALU_DEP_1)
	v_sub_nc_u32_e32 v10, v6, v8
	s_wait_alu 0xfffd
	v_subrev_co_ci_u32_e64 v10, s2, s19, v10, vcc_lo
	v_add_co_u32 v11, s2, v4, 2
	s_wait_alu 0xf1ff
	v_add_co_ci_u32_e64 v12, s2, 0, v9, s2
	v_sub_co_u32 v13, s2, v7, s18
	v_sub_co_ci_u32_e32 v8, vcc_lo, v6, v8, vcc_lo
	s_wait_alu 0xf1ff
	v_subrev_co_ci_u32_e64 v10, s2, 0, v10, s2
	s_delay_alu instid0(VALU_DEP_3) | instskip(NEXT) | instid1(VALU_DEP_3)
	v_cmp_le_u32_e32 vcc_lo, s18, v13
	v_cmp_eq_u32_e64 s2, s19, v8
	s_wait_alu 0xfffd
	v_cndmask_b32_e64 v13, 0, -1, vcc_lo
	v_cmp_le_u32_e32 vcc_lo, s19, v10
	s_wait_alu 0xfffd
	v_cndmask_b32_e64 v14, 0, -1, vcc_lo
	v_cmp_le_u32_e32 vcc_lo, s18, v7
	;; [unrolled: 3-line block ×3, first 2 shown]
	s_wait_alu 0xfffd
	v_cndmask_b32_e64 v15, 0, -1, vcc_lo
	v_cmp_eq_u32_e32 vcc_lo, s19, v10
	s_wait_alu 0xf1ff
	s_delay_alu instid0(VALU_DEP_2)
	v_cndmask_b32_e64 v7, v15, v7, s2
	s_wait_alu 0xfffd
	v_cndmask_b32_e32 v10, v14, v13, vcc_lo
	v_add_co_u32 v13, vcc_lo, v4, 1
	s_wait_alu 0xfffd
	v_add_co_ci_u32_e32 v14, vcc_lo, 0, v9, vcc_lo
	s_delay_alu instid0(VALU_DEP_3) | instskip(SKIP_1) | instid1(VALU_DEP_2)
	v_cmp_ne_u32_e32 vcc_lo, 0, v10
	s_wait_alu 0xfffd
	v_dual_cndmask_b32 v11, v13, v11 :: v_dual_cndmask_b32 v8, v14, v12
	v_cmp_ne_u32_e32 vcc_lo, 0, v7
	s_wait_alu 0xfffd
	s_delay_alu instid0(VALU_DEP_2)
	v_dual_cndmask_b32 v10, v9, v8 :: v_dual_cndmask_b32 v9, v4, v11
.LBB0_4:                                ;   in Loop: Header=BB0_2 Depth=1
	s_wait_alu 0xfffe
	s_and_not1_saveexec_b32 s2, s20
	s_cbranch_execz .LBB0_6
; %bb.5:                                ;   in Loop: Header=BB0_2 Depth=1
	v_cvt_f32_u32_e32 v4, s18
	s_sub_co_i32 s20, 0, s18
	v_mov_b32_e32 v10, v3
	s_delay_alu instid0(VALU_DEP_2) | instskip(NEXT) | instid1(TRANS32_DEP_1)
	v_rcp_iflag_f32_e32 v4, v4
	v_mul_f32_e32 v4, 0x4f7ffffe, v4
	s_delay_alu instid0(VALU_DEP_1) | instskip(SKIP_1) | instid1(VALU_DEP_1)
	v_cvt_u32_f32_e32 v4, v4
	s_wait_alu 0xfffe
	v_mul_lo_u32 v7, s20, v4
	s_delay_alu instid0(VALU_DEP_1) | instskip(NEXT) | instid1(VALU_DEP_1)
	v_mul_hi_u32 v7, v4, v7
	v_add_nc_u32_e32 v4, v4, v7
	s_delay_alu instid0(VALU_DEP_1) | instskip(NEXT) | instid1(VALU_DEP_1)
	v_mul_hi_u32 v4, v5, v4
	v_mul_lo_u32 v7, v4, s18
	v_add_nc_u32_e32 v8, 1, v4
	s_delay_alu instid0(VALU_DEP_2) | instskip(NEXT) | instid1(VALU_DEP_1)
	v_sub_nc_u32_e32 v7, v5, v7
	v_subrev_nc_u32_e32 v9, s18, v7
	v_cmp_le_u32_e32 vcc_lo, s18, v7
	s_wait_alu 0xfffd
	s_delay_alu instid0(VALU_DEP_2) | instskip(NEXT) | instid1(VALU_DEP_1)
	v_dual_cndmask_b32 v7, v7, v9 :: v_dual_cndmask_b32 v4, v4, v8
	v_cmp_le_u32_e32 vcc_lo, s18, v7
	s_delay_alu instid0(VALU_DEP_2) | instskip(SKIP_1) | instid1(VALU_DEP_1)
	v_add_nc_u32_e32 v8, 1, v4
	s_wait_alu 0xfffd
	v_cndmask_b32_e32 v9, v4, v8, vcc_lo
.LBB0_6:                                ;   in Loop: Header=BB0_2 Depth=1
	s_wait_alu 0xfffe
	s_or_b32 exec_lo, exec_lo, s2
	s_load_b64 s[20:21], s[12:13], 0x0
	v_mul_lo_u32 v4, v10, s18
	v_mul_lo_u32 v11, v9, s19
	v_mad_co_u64_u32 v[7:8], null, v9, s18, 0
	s_add_nc_u64 s[14:15], s[14:15], 1
	s_add_nc_u64 s[12:13], s[12:13], 8
	s_wait_alu 0xfffe
	v_cmp_ge_u64_e64 s2, s[14:15], s[6:7]
	s_add_nc_u64 s[16:17], s[16:17], 8
	s_delay_alu instid0(VALU_DEP_2) | instskip(NEXT) | instid1(VALU_DEP_3)
	v_add3_u32 v4, v8, v11, v4
	v_sub_co_u32 v5, vcc_lo, v5, v7
	s_wait_alu 0xfffd
	s_delay_alu instid0(VALU_DEP_2) | instskip(SKIP_3) | instid1(VALU_DEP_2)
	v_sub_co_ci_u32_e32 v4, vcc_lo, v6, v4, vcc_lo
	s_and_b32 vcc_lo, exec_lo, s2
	s_wait_kmcnt 0x0
	v_mul_lo_u32 v6, s21, v5
	v_mul_lo_u32 v4, s20, v4
	v_mad_co_u64_u32 v[1:2], null, s20, v5, v[1:2]
	s_delay_alu instid0(VALU_DEP_1)
	v_add3_u32 v2, v6, v2, v4
	s_wait_alu 0xfffe
	s_cbranch_vccnz .LBB0_9
; %bb.7:                                ;   in Loop: Header=BB0_2 Depth=1
	v_dual_mov_b32 v5, v9 :: v_dual_mov_b32 v6, v10
	s_branch .LBB0_2
.LBB0_8:
	v_dual_mov_b32 v10, v6 :: v_dual_mov_b32 v9, v5
.LBB0_9:
	s_lshl_b64 s[2:3], s[6:7], 3
	v_mul_hi_u32 v3, 0x5d1745e, v0
	s_wait_alu 0xfffe
	s_add_nc_u64 s[2:3], s[10:11], s[2:3]
	s_load_b64 s[2:3], s[2:3], 0x0
	s_load_b64 s[0:1], s[0:1], 0x20
	s_delay_alu instid0(VALU_DEP_1) | instskip(NEXT) | instid1(VALU_DEP_1)
	v_mul_u32_u24_e32 v3, 44, v3
	v_sub_nc_u32_e32 v8, v0, v3
	s_delay_alu instid0(VALU_DEP_1)
	v_add_nc_u32_e32 v12, 44, v8
	v_add_nc_u32_e32 v14, 0x58, v8
	s_wait_kmcnt 0x0
	v_mul_lo_u32 v4, s2, v10
	v_mul_lo_u32 v5, s3, v9
	v_mad_co_u64_u32 v[1:2], null, s2, v9, v[1:2]
	v_cmp_gt_u64_e32 vcc_lo, s[0:1], v[9:10]
	v_cmp_le_u64_e64 s0, s[0:1], v[9:10]
	s_delay_alu instid0(VALU_DEP_3) | instskip(NEXT) | instid1(VALU_DEP_2)
	v_add3_u32 v2, v5, v2, v4
	s_and_saveexec_b32 s1, s0
	s_wait_alu 0xfffe
	s_xor_b32 s0, exec_lo, s1
; %bb.10:
	v_add_nc_u32_e32 v12, 44, v8
	v_add_nc_u32_e32 v14, 0x58, v8
; %bb.11:
	s_wait_alu 0xfffe
	s_or_saveexec_b32 s1, s0
	v_lshlrev_b64_e32 v[10:11], 2, v[1:2]
	v_lshl_add_u32 v25, v8, 2, 0
	s_wait_alu 0xfffe
	s_xor_b32 exec_lo, exec_lo, s1
	s_cbranch_execz .LBB0_13
; %bb.12:
	v_mov_b32_e32 v9, 0
	v_add_co_u32 v2, s0, s8, v10
	s_wait_alu 0xf1ff
	v_add_co_ci_u32_e64 v3, s0, s9, v11, s0
	s_delay_alu instid0(VALU_DEP_3) | instskip(NEXT) | instid1(VALU_DEP_1)
	v_lshlrev_b64_e32 v[0:1], 2, v[8:9]
	v_add_co_u32 v0, s0, v2, v0
	s_wait_alu 0xf1ff
	s_delay_alu instid0(VALU_DEP_2)
	v_add_co_ci_u32_e64 v1, s0, v3, v1, s0
	s_clause 0xa
	global_load_b32 v2, v[0:1], off
	global_load_b32 v3, v[0:1], off offset:176
	global_load_b32 v4, v[0:1], off offset:352
	;; [unrolled: 1-line block ×10, first 2 shown]
	v_add_nc_u32_e32 v1, 0x400, v25
	s_wait_loadcnt 0x9
	ds_store_2addr_b32 v25, v2, v3 offset1:44
	s_wait_loadcnt 0x7
	ds_store_2addr_b32 v25, v4, v5 offset0:88 offset1:132
	s_wait_loadcnt 0x5
	ds_store_2addr_b32 v25, v6, v7 offset0:176 offset1:220
	s_wait_loadcnt 0x3
	ds_store_2addr_b32 v1, v9, v13 offset0:8 offset1:52
	s_wait_loadcnt 0x1
	ds_store_2addr_b32 v1, v15, v16 offset0:96 offset1:140
	s_wait_loadcnt 0x0
	ds_store_b32 v25, v0 offset:1760
.LBB0_13:
	s_or_b32 exec_lo, exec_lo, s1
	v_add_nc_u32_e32 v2, 0x200, v25
	v_add_nc_u32_e32 v9, 0x400, v25
	global_wb scope:SCOPE_SE
	s_wait_dscnt 0x0
	s_barrier_signal -1
	s_barrier_wait -1
	global_inv scope:SCOPE_SE
	ds_load_2addr_b32 v[15:16], v25 offset1:44
	ds_load_2addr_b32 v[0:1], v25 offset0:88 offset1:121
	ds_load_2addr_b32 v[17:18], v2 offset0:114 offset1:158
	;; [unrolled: 1-line block ×5, first 2 shown]
	v_cmp_gt_u32_e64 s0, 33, v8
	v_mad_u32_u24 v13, v8, 12, v25
	v_lshl_add_u32 v26, v12, 4, 0
	global_wb scope:SCOPE_SE
	s_wait_dscnt 0x0
	s_barrier_signal -1
	s_barrier_wait -1
	global_inv scope:SCOPE_SE
	v_pk_add_f16 v17, v15, v17 neg_lo:[0,1] neg_hi:[0,1]
	v_pk_add_f16 v5, v1, v5 neg_lo:[0,1] neg_hi:[0,1]
	;; [unrolled: 1-line block ×4, first 2 shown]
	s_delay_alu instid0(VALU_DEP_4) | instskip(NEXT) | instid1(VALU_DEP_4)
	v_pk_fma_f16 v15, v15, 2.0, v17 op_sel_hi:[1,0,1] neg_lo:[0,0,1] neg_hi:[0,0,1]
	v_pk_fma_f16 v1, v1, 2.0, v5 op_sel_hi:[1,0,1] neg_lo:[0,0,1] neg_hi:[0,0,1]
	s_wait_alu 0xf1ff
	v_alignbit_b32 v21, s0, v18, 16
	v_alignbit_b32 v19, s0, v6, 16
	v_pk_add_f16 v22, v17, v5 op_sel:[0,1] op_sel_hi:[1,0] neg_lo:[0,1] neg_hi:[0,1]
	v_lshrrev_b32_e32 v23, 16, v15
	v_pk_add_f16 v1, v15, v1 neg_lo:[0,1] neg_hi:[0,1]
	v_pk_add_f16 v5, v17, v5 op_sel:[0,1] op_sel_hi:[1,0]
	v_pk_fma_f16 v16, v16, 2.0, v18 op_sel_hi:[1,0,1] neg_lo:[0,0,1] neg_hi:[0,0,1]
	v_pk_fma_f16 v2, v2, 2.0, v6 op_sel_hi:[1,0,1] neg_lo:[0,0,1] neg_hi:[0,0,1]
	v_lshrrev_b32_e32 v20, 16, v18
	v_lshrrev_b32_e32 v24, 16, v1
	v_fma_f16 v15, v15, 2.0, -v1
	v_pk_add_f16 v19, v18, v19 neg_lo:[0,1] neg_hi:[0,1]
	v_pk_add_f16 v6, v21, v6
	v_bfi_b32 v5, 0xffff, v22, v5
	v_fma_f16 v23, v23, 2.0, -v24
	v_and_b32_e32 v15, 0xffff, v15
	v_pk_add_f16 v2, v16, v2 neg_lo:[0,1] neg_hi:[0,1]
	v_fma_f16 v18, v18, 2.0, -v19
	v_fma_f16 v20, v20, 2.0, -v6
	v_lshlrev_b32_e32 v21, 16, v23
	v_pk_fma_f16 v17, v17, 2.0, v5 op_sel_hi:[1,0,1] neg_lo:[0,0,1] neg_hi:[0,0,1]
	v_pk_fma_f16 v16, v16, 2.0, v2 op_sel_hi:[1,0,1] neg_lo:[0,0,1] neg_hi:[0,0,1]
	v_pack_b32_f16 v6, v19, v6
	v_pack_b32_f16 v18, v18, v20
	v_or_b32_e32 v15, v21, v15
	ds_store_2addr_b32 v13, v17, v1 offset0:1 offset1:2
	ds_store_2addr_b32 v13, v15, v5 offset1:3
	ds_store_2addr_b32 v26, v16, v18 offset1:1
	ds_store_2addr_b32 v26, v2, v6 offset0:2 offset1:3
	s_and_saveexec_b32 s1, s0
	s_cbranch_execz .LBB0_15
; %bb.14:
	v_pk_add_f16 v1, v3, v7 neg_lo:[0,1] neg_hi:[0,1]
	v_pk_add_f16 v2, v0, v4 neg_lo:[0,1] neg_hi:[0,1]
	s_delay_alu instid0(VALU_DEP_2) | instskip(NEXT) | instid1(VALU_DEP_2)
	v_alignbit_b32 v4, s0, v1, 16
	v_alignbit_b32 v5, s0, v2, 16
	v_lshrrev_b32_e32 v6, 16, v2
	v_pk_fma_f16 v0, v0, 2.0, v2 op_sel_hi:[1,0,1] neg_lo:[0,0,1] neg_hi:[0,0,1]
	v_pk_fma_f16 v3, v3, 2.0, v1 op_sel_hi:[1,0,1] neg_lo:[0,0,1] neg_hi:[0,0,1]
	v_pk_add_f16 v4, v2, v4 neg_lo:[0,1] neg_hi:[0,1]
	v_pk_add_f16 v1, v5, v1
	s_delay_alu instid0(VALU_DEP_3) | instskip(NEXT) | instid1(VALU_DEP_3)
	v_pk_add_f16 v3, v0, v3 neg_lo:[0,1] neg_hi:[0,1]
	v_fma_f16 v2, v2, 2.0, -v4
	s_delay_alu instid0(VALU_DEP_3) | instskip(SKIP_3) | instid1(VALU_DEP_4)
	v_fma_f16 v5, v6, 2.0, -v1
	v_lshl_add_u32 v6, v14, 4, 0
	v_pack_b32_f16 v1, v4, v1
	v_pk_fma_f16 v0, v0, 2.0, v3 op_sel_hi:[1,0,1] neg_lo:[0,0,1] neg_hi:[0,0,1]
	v_pack_b32_f16 v2, v2, v5
	ds_store_2addr_b32 v6, v0, v2 offset1:1
	ds_store_2addr_b32 v6, v3, v1 offset0:2 offset1:3
.LBB0_15:
	s_wait_alu 0xfffe
	s_or_b32 exec_lo, exec_lo, s1
	v_and_b32_e32 v28, 3, v8
	global_wb scope:SCOPE_SE
	s_wait_dscnt 0x0
	s_barrier_signal -1
	s_barrier_wait -1
	global_inv scope:SCOPE_SE
	v_mul_u32_u24_e32 v0, 10, v28
	v_lshl_add_u32 v27, v14, 2, 0
	v_lshrrev_b32_e32 v30, 2, v8
	v_mul_u32_u24_e32 v31, 10, v8
	s_mov_b32 s1, exec_lo
	v_lshlrev_b32_e32 v13, 2, v0
	s_clause 0x2
	global_load_b128 v[0:3], v13, s[4:5]
	global_load_b128 v[4:7], v13, s[4:5] offset:16
	global_load_b64 v[17:18], v13, s[4:5] offset:32
	v_mad_i32_i24 v13, v12, -12, v26
	ds_load_2addr_b32 v[21:22], v9 offset0:8 offset1:52
	ds_load_2addr_b32 v[15:16], v25 offset1:132
	ds_load_2addr_b32 v[19:20], v9 offset0:96 offset1:140
	ds_load_b32 v29, v25 offset:1760
	ds_load_2addr_b32 v[23:24], v25 offset0:176 offset1:220
	ds_load_b32 v32, v13
	ds_load_b32 v33, v27
	v_mul_u32_u24_e32 v30, 44, v30
	v_lshlrev_b32_e32 v31, 2, v31
	global_wb scope:SCOPE_SE
	s_wait_loadcnt_dscnt 0x0
	s_barrier_signal -1
	s_barrier_wait -1
	v_or_b32_e32 v28, v30, v28
	global_inv scope:SCOPE_SE
	v_lshl_add_u32 v28, v28, 2, 0
	v_lshrrev_b32_e32 v30, 16, v21
	v_lshrrev_b32_e32 v34, 16, v22
	;; [unrolled: 1-line block ×21, first 2 shown]
	v_mul_f16_e32 v54, v44, v42
	v_mul_f16_e32 v44, v44, v32
	;; [unrolled: 1-line block ×20, first 2 shown]
	v_fma_f16 v32, v0, v32, -v54
	v_fmac_f16_e32 v44, v0, v42
	v_fma_f16 v0, v1, v33, -v55
	v_fmac_f16_e32 v45, v1, v43
	;; [unrolled: 2-line block ×8, first 2 shown]
	v_fma_f16 v7, v20, v17, -v62
	v_fma_f16 v16, v29, v18, -v63
	v_fmac_f16_e32 v53, v37, v18
	v_fmac_f16_e32 v52, v36, v17
	v_add_f16_e32 v17, v32, v15
	v_add_f16_e32 v18, v44, v41
	v_add_f16_e32 v23, v0, v7
	v_sub_f16_e32 v29, v0, v7
	v_add_f16_e32 v19, v32, v16
	v_add_f16_e32 v0, v17, v0
	;; [unrolled: 1-line block ×3, first 2 shown]
	v_sub_f16_e32 v21, v32, v16
	v_add_f16_e32 v32, v1, v6
	v_sub_f16_e32 v34, v1, v6
	v_add_f16_e32 v0, v0, v1
	v_add_f16_e32 v1, v17, v46
	v_sub_f16_e32 v22, v44, v53
	v_add_f16_e32 v20, v44, v53
	v_add_f16_e32 v24, v45, v52
	;; [unrolled: 1-line block ×4, first 2 shown]
	v_sub_f16_e32 v30, v45, v52
	v_sub_f16_e32 v35, v46, v51
	v_sub_f16_e32 v36, v47, v50
	v_sub_f16_e32 v38, v2, v5
	v_sub_f16_e32 v40, v48, v49
	v_sub_f16_e32 v43, v3, v4
	v_mul_f16_e32 v18, 0xb853, v22
	v_mul_f16_e32 v45, 0xb853, v21
	;; [unrolled: 1-line block ×10, first 2 shown]
	v_add_f16_e32 v0, v0, v3
	v_add_f16_e32 v1, v1, v48
	;; [unrolled: 1-line block ×7, first 2 shown]
	v_mul_f16_e32 v60, 0xbb47, v30
	v_mul_f16_e32 v61, 0xbb47, v29
	;; [unrolled: 1-line block ×40, first 2 shown]
	v_fma_f16 v17, v19, 0x3abb, -v18
	v_fmamk_f16 v46, v20, 0x3abb, v45
	v_fmac_f16_e32 v18, 0x3abb, v19
	v_fma_f16 v45, v20, 0x3abb, -v45
	v_fma_f16 v92, v19, 0x36a6, -v54
	v_fmamk_f16 v93, v20, 0x36a6, v55
	v_fmac_f16_e32 v54, 0x36a6, v19
	v_fma_f16 v55, v20, 0x36a6, -v55
	;; [unrolled: 4-line block ×5, first 2 shown]
	v_add_f16_e32 v0, v0, v4
	v_add_f16_e32 v1, v1, v49
	v_fma_f16 v20, v23, 0x36a6, -v60
	v_fmamk_f16 v21, v24, 0x36a6, v61
	v_fmac_f16_e32 v60, 0x36a6, v23
	v_fma_f16 v61, v24, 0x36a6, -v61
	v_fma_f16 v100, v23, 0xb93d, -v62
	v_fmamk_f16 v101, v24, 0xb93d, v63
	v_fmac_f16_e32 v62, 0xb93d, v23
	v_fma_f16 v63, v24, 0xb93d, -v63
	;; [unrolled: 4-line block ×9, first 2 shown]
	v_fma_f16 v114, v32, 0xb93d, -v35
	v_fmac_f16_e32 v35, 0xb93d, v32
	v_fmamk_f16 v32, v33, 0xb93d, v34
	v_fma_f16 v33, v33, 0xb93d, -v34
	v_fma_f16 v34, v37, 0xb93d, -v76
	v_fmac_f16_e32 v76, 0xb93d, v37
	v_fma_f16 v115, v37, 0xb08e, -v77
	v_fmac_f16_e32 v77, 0xb08e, v37
	;; [unrolled: 2-line block ×5, first 2 shown]
	v_fmamk_f16 v37, v39, 0xb93d, v80
	v_fma_f16 v80, v39, 0xb93d, -v80
	v_fmamk_f16 v119, v39, 0xb08e, v81
	v_fma_f16 v81, v39, 0xb08e, -v81
	;; [unrolled: 2-line block ×5, first 2 shown]
	v_fma_f16 v39, v42, 0xbbad, -v84
	v_fmac_f16_e32 v84, 0xbbad, v42
	v_fma_f16 v123, v42, 0x3abb, -v85
	v_fmac_f16_e32 v85, 0x3abb, v42
	;; [unrolled: 2-line block ×5, first 2 shown]
	v_fmamk_f16 v42, v44, 0xbbad, v88
	v_fma_f16 v88, v44, 0xbbad, -v88
	v_fmamk_f16 v127, v44, 0x3abb, v89
	v_fma_f16 v89, v44, 0x3abb, -v89
	v_fma_f16 v128, 0xb93d, v44, v90
	v_fma_f16 v90, v44, 0xb93d, -v90
	v_fma_f16 v129, 0x36a6, v44, v91
	;; [unrolled: 2-line block ×3, first 2 shown]
	v_fma_f16 v43, v44, 0xb08e, -v43
	v_add_f16_e32 v17, v17, v15
	v_add_f16_e32 v18, v18, v15
	;; [unrolled: 1-line block ×95, first 2 shown]
	v_add_f16_e64 v22, v128, v23
	v_add_f16_e32 v23, v86, v24
	v_add_f16_e32 v24, v90, v29
	v_add_f16_e32 v29, v125, v30
	v_add_f16_e64 v30, v129, v33
	v_add_f16_e32 v33, v87, v34
	v_add_f16_e32 v34, v91, v35
	v_add_f16_e32 v35, v126, v37
	;; [unrolled: 4-line block ×3, first 2 shown]
	v_add_f16_e32 v5, v88, v5
	v_lshlrev_b32_e32 v1, 16, v1
	v_and_b32_e32 v0, 0xffff, v0
	v_pack_b32_f16 v2, v3, v2
	v_pack_b32_f16 v3, v6, v17
	;; [unrolled: 1-line block ×10, first 2 shown]
	v_or_b32_e32 v0, v1, v0
	ds_store_2addr_b32 v28, v3, v6 offset0:8 offset1:12
	ds_store_2addr_b32 v28, v7, v16 offset0:16 offset1:20
	;; [unrolled: 1-line block ×4, first 2 shown]
	ds_store_b32 v28, v4 offset:160
	ds_store_2addr_b32 v28, v0, v2 offset1:4
	global_wb scope:SCOPE_SE
	s_wait_dscnt 0x0
	s_barrier_signal -1
	s_barrier_wait -1
	global_inv scope:SCOPE_SE
	s_clause 0x2
	global_load_b128 v[0:3], v31, s[4:5] offset:160
	global_load_b128 v[4:7], v31, s[4:5] offset:176
	global_load_b64 v[17:18], v31, s[4:5] offset:192
	ds_load_2addr_b32 v[21:22], v9 offset0:8 offset1:52
	ds_load_2addr_b32 v[19:20], v9 offset0:96 offset1:140
	ds_load_b32 v28, v25 offset:1760
	ds_load_b32 v29, v13
	ds_load_b32 v13, v27
	ds_load_2addr_b32 v[15:16], v25 offset1:132
	ds_load_2addr_b32 v[23:24], v25 offset0:176 offset1:220
	global_wb scope:SCOPE_SE
	s_wait_loadcnt_dscnt 0x0
	s_barrier_signal -1
	s_barrier_wait -1
	global_inv scope:SCOPE_SE
	v_lshrrev_b32_e32 v30, 16, v21
	v_lshrrev_b32_e32 v31, 16, v22
	;; [unrolled: 1-line block ×20, first 2 shown]
	v_mul_f16_e32 v51, v41, v35
	v_mul_f16_e32 v41, v41, v29
	v_lshrrev_b32_e32 v50, 16, v18
	v_mul_f16_e32 v52, v42, v36
	v_mul_f16_e32 v42, v42, v13
	;; [unrolled: 1-line block ×16, first 2 shown]
	v_fma_f16 v29, v0, v29, -v51
	v_fmac_f16_e32 v41, v0, v35
	v_mul_f16_e32 v60, v34, v50
	v_fma_f16 v0, v1, v13, -v52
	v_fmac_f16_e32 v42, v1, v36
	v_fma_f16 v1, v2, v16, -v53
	v_fmac_f16_e32 v43, v2, v37
	;; [unrolled: 2-line block ×8, first 2 shown]
	v_add_f16_e32 v16, v29, v15
	v_add_f16_e32 v17, v41, v40
	v_mul_f16_e32 v50, v28, v50
	v_fma_f16 v13, v28, v18, -v60
	v_add_f16_e32 v22, v0, v7
	v_sub_f16_e32 v24, v0, v7
	v_add_f16_e32 v0, v16, v0
	v_add_f16_e32 v16, v17, v42
	v_fmac_f16_e32 v50, v34, v18
	v_add_f16_e32 v18, v29, v13
	v_sub_f16_e32 v20, v29, v13
	v_add_f16_e32 v29, v1, v6
	v_sub_f16_e32 v31, v1, v6
	v_add_f16_e32 v0, v0, v1
	v_add_f16_e32 v1, v16, v43
	v_sub_f16_e32 v21, v41, v50
	v_add_f16_e32 v19, v41, v50
	v_add_f16_e32 v23, v42, v49
	;; [unrolled: 1-line block ×4, first 2 shown]
	v_sub_f16_e32 v28, v42, v49
	v_sub_f16_e32 v32, v43, v48
	;; [unrolled: 1-line block ×6, first 2 shown]
	v_mul_f16_e32 v17, 0xb853, v21
	v_mul_f16_e32 v42, 0xb853, v20
	;; [unrolled: 1-line block ×10, first 2 shown]
	v_add_f16_e32 v0, v0, v3
	v_add_f16_e32 v1, v1, v45
	;; [unrolled: 1-line block ×7, first 2 shown]
	v_mul_f16_e32 v57, 0xbb47, v28
	v_mul_f16_e32 v58, 0xbb47, v24
	v_mul_f16_e32 v59, 0xba0c, v28
	v_mul_f16_e32 v60, 0xba0c, v24
	v_mul_f16_e32 v61, 0x3482, v28
	v_mul_f16_e32 v62, 0x3482, v24
	v_mul_f16_e32 v63, 0x3beb, v28
	v_mul_f16_e32 v64, 0x3beb, v24
	v_mul_f16_e32 v28, 0x3853, v28
	v_mul_f16_e32 v24, 0x3853, v24
	v_mul_f16_e32 v65, 0xbbeb, v32
	v_mul_f16_e32 v66, 0xbbeb, v31
	v_mul_f16_e32 v67, 0x3482, v32
	v_mul_f16_e32 v68, 0x3482, v31
	v_mul_f16_e32 v69, 0x3b47, v32
	v_mul_f16_e32 v70, 0x3b47, v31
	v_mul_f16_e32 v71, 0xb853, v32
	v_mul_f16_e32 v72, 0xb853, v31
	v_mul_f16_e32 v32, 0xba0c, v32
	v_mul_f16_e32 v31, 0xba0c, v31
	v_mul_f16_e32 v73, 0xba0c, v33
	v_mul_f16_e32 v74, 0x3beb, v33
	v_mul_f16_e32 v75, 0xb853, v33
	v_mul_f16_e32 v76, 0xb482, v33
	v_mul_f16_e32 v33, 0x3b47, v33
	v_mul_f16_e32 v77, 0xba0c, v35
	v_mul_f16_e32 v78, 0x3beb, v35
	v_mul_f16_e32 v79, 0xb853, v35
	v_mul_f16_e32 v80, 0xb482, v35
	v_mul_f16_e32 v35, 0x3b47, v35
	v_mul_f16_e32 v81, 0xb482, v37
	v_mul_f16_e32 v82, 0x3853, v37
	v_mul_f16_e32 v83, 0xba0c, v37
	v_mul_f16_e32 v84, 0x3b47, v37
	v_mul_f16_e32 v37, 0xbbeb, v37
	v_mul_f16_e32 v85, 0xb482, v39
	v_mul_f16_e32 v86, 0x3853, v39
	v_mul_f16_e32 v87, 0xba0c, v39
	v_mul_f16_e32 v88, 0x3b47, v39
	v_mul_f16_e32 v39, 0xbbeb, v39
	v_fma_f16 v16, v18, 0x3abb, -v17
	v_fmamk_f16 v43, v19, 0x3abb, v42
	v_fmac_f16_e32 v17, 0x3abb, v18
	v_fma_f16 v42, v19, 0x3abb, -v42
	v_fma_f16 v89, v18, 0x36a6, -v51
	v_fmamk_f16 v90, v19, 0x36a6, v52
	v_fmac_f16_e32 v51, 0x36a6, v18
	v_fma_f16 v52, v19, 0x36a6, -v52
	;; [unrolled: 4-line block ×5, first 2 shown]
	v_add_f16_e32 v0, v0, v4
	v_add_f16_e32 v1, v1, v46
	v_fma_f16 v19, v22, 0x36a6, -v57
	v_fmamk_f16 v20, v23, 0x36a6, v58
	v_fmac_f16_e32 v57, 0x36a6, v22
	v_fma_f16 v58, v23, 0x36a6, -v58
	v_fma_f16 v97, v22, 0xb93d, -v59
	v_fmamk_f16 v98, v23, 0xb93d, v60
	v_fmac_f16_e32 v59, 0xb93d, v22
	v_fma_f16 v60, v23, 0xb93d, -v60
	;; [unrolled: 4-line block ×9, first 2 shown]
	v_fma_f16 v111, v29, 0xb93d, -v32
	v_fmac_f16_e32 v32, 0xb93d, v29
	v_fmamk_f16 v29, v30, 0xb93d, v31
	v_fma_f16 v30, v30, 0xb93d, -v31
	v_fma_f16 v31, v34, 0xb93d, -v73
	v_fmac_f16_e32 v73, 0xb93d, v34
	v_fma_f16 v112, v34, 0xb08e, -v74
	v_fmac_f16_e32 v74, 0xb08e, v34
	;; [unrolled: 2-line block ×5, first 2 shown]
	v_fmamk_f16 v34, v36, 0xb93d, v77
	v_fma_f16 v77, v36, 0xb93d, -v77
	v_fmamk_f16 v116, v36, 0xb08e, v78
	v_fma_f16 v78, v36, 0xb08e, -v78
	;; [unrolled: 2-line block ×5, first 2 shown]
	v_fma_f16 v36, v38, 0xbbad, -v81
	v_fmac_f16_e32 v81, 0xbbad, v38
	v_fma_f16 v120, v38, 0x3abb, -v82
	v_fmac_f16_e32 v82, 0x3abb, v38
	;; [unrolled: 2-line block ×5, first 2 shown]
	v_fmamk_f16 v38, v41, 0xbbad, v85
	v_fma_f16 v85, v41, 0xbbad, -v85
	v_fmamk_f16 v124, v41, 0x3abb, v86
	v_fma_f16 v86, v41, 0x3abb, -v86
	;; [unrolled: 2-line block ×5, first 2 shown]
	v_add_f16_e32 v16, v16, v15
	v_add_f16_e32 v17, v17, v15
	;; [unrolled: 1-line block ×108, first 2 shown]
	v_lshlrev_b32_e32 v1, 16, v1
	v_and_b32_e32 v0, 0xffff, v0
	v_pack_b32_f16 v2, v3, v2
	v_pack_b32_f16 v3, v6, v16
	v_pack_b32_f16 v6, v20, v21
	v_pack_b32_f16 v7, v24, v28
	v_pack_b32_f16 v13, v32, v29
	v_pack_b32_f16 v15, v15, v18
	v_pack_b32_f16 v16, v30, v31
	v_pack_b32_f16 v18, v22, v23
	v_pack_b32_f16 v17, v17, v19
	v_pack_b32_f16 v4, v4, v5
	v_or_b32_e32 v0, v1, v0
	ds_store_2addr_b32 v25, v3, v6 offset0:88 offset1:132
	ds_store_2addr_b32 v25, v7, v13 offset0:176 offset1:220
	;; [unrolled: 1-line block ×4, first 2 shown]
	ds_store_b32 v25, v4 offset:1760
	ds_store_2addr_b32 v25, v0, v2 offset1:44
	global_wb scope:SCOPE_SE
	s_wait_dscnt 0x0
	s_barrier_signal -1
	s_barrier_wait -1
	global_inv scope:SCOPE_SE
	ds_load_b32 v2, v25
	v_lshlrev_b32_e32 v0, 2, v8
                                        ; implicit-def: $vgpr7
                                        ; implicit-def: $vgpr6
                                        ; implicit-def: $vgpr5
	s_delay_alu instid0(VALU_DEP_1)
	v_sub_nc_u32_e32 v4, 0, v0
                                        ; implicit-def: $vgpr0_vgpr1
	s_wait_dscnt 0x0
	v_lshrrev_b32_e32 v3, 16, v2
	v_cmpx_ne_u32_e32 0, v8
	s_wait_alu 0xfffe
	s_xor_b32 s1, exec_lo, s1
	s_cbranch_execz .LBB0_17
; %bb.16:
	v_mov_b32_e32 v9, 0
	s_delay_alu instid0(VALU_DEP_1) | instskip(NEXT) | instid1(VALU_DEP_1)
	v_lshlrev_b64_e32 v[0:1], 2, v[8:9]
	v_add_co_u32 v0, s0, s4, v0
	s_wait_alu 0xf1ff
	s_delay_alu instid0(VALU_DEP_2)
	v_add_co_ci_u32_e64 v1, s0, s5, v1, s0
	global_load_b32 v0, v[0:1], off offset:1920
	ds_load_b32 v1, v4 offset:1936
	s_wait_dscnt 0x0
	v_lshrrev_b32_e32 v5, 16, v1
	v_sub_f16_e32 v6, v2, v1
	v_add_f16_e32 v1, v1, v2
	s_delay_alu instid0(VALU_DEP_3) | instskip(SKIP_1) | instid1(VALU_DEP_4)
	v_add_f16_e32 v7, v5, v3
	v_sub_f16_e32 v3, v3, v5
	v_mul_f16_e32 v13, 0.5, v6
	s_delay_alu instid0(VALU_DEP_3) | instskip(NEXT) | instid1(VALU_DEP_3)
	v_mul_f16_e32 v2, 0.5, v7
	v_mul_f16_e32 v3, 0.5, v3
	s_wait_loadcnt 0x0
	v_lshrrev_b32_e32 v5, 16, v0
	s_delay_alu instid0(VALU_DEP_1) | instskip(NEXT) | instid1(VALU_DEP_3)
	v_mul_f16_e32 v6, v5, v13
	v_fma_f16 v7, v2, v5, v3
	v_fma_f16 v3, v2, v5, -v3
	s_delay_alu instid0(VALU_DEP_3) | instskip(SKIP_1) | instid1(VALU_DEP_4)
	v_fma_f16 v15, 0.5, v1, v6
	v_fma_f16 v1, v1, 0.5, -v6
	v_fma_f16 v5, -v0, v13, v7
	s_delay_alu instid0(VALU_DEP_4) | instskip(NEXT) | instid1(VALU_DEP_4)
	v_fma_f16 v7, -v0, v13, v3
                                        ; implicit-def: $vgpr3
	v_fmac_f16_e32 v15, v0, v2
	s_delay_alu instid0(VALU_DEP_4)
	v_fma_f16 v6, -v0, v2, v1
	v_dual_mov_b32 v0, v8 :: v_dual_mov_b32 v1, v9
                                        ; implicit-def: $vgpr2
	ds_store_b16 v25, v15
.LBB0_17:
	s_wait_alu 0xfffe
	s_or_saveexec_b32 s0, s1
	v_mul_i32_i24_e32 v9, -12, v12
	s_wait_alu 0xfffe
	s_xor_b32 exec_lo, exec_lo, s0
	s_cbranch_execz .LBB0_19
; %bb.18:
	v_mov_b32_e32 v5, 0
	v_add_f16_e32 v13, v3, v2
	v_sub_f16_e32 v6, v2, v3
	v_mov_b32_e32 v7, 0
	ds_load_u16 v0, v5 offset:970
	s_wait_dscnt 0x0
	v_xor_b32_e32 v2, 0x8000, v0
	v_mov_b32_e32 v0, 0
	v_mov_b32_e32 v1, 0
	ds_store_b16 v25, v13
	ds_store_b16 v5, v2 offset:970
.LBB0_19:
	s_or_b32 exec_lo, exec_lo, s0
	v_mov_b32_e32 v13, 0
	v_lshlrev_b64_e32 v[0:1], 2, v[0:1]
	v_perm_b32 v6, v7, v6, 0x5040100
	v_add_nc_u32_e32 v7, v26, v9
	s_delay_alu instid0(VALU_DEP_4) | instskip(SKIP_1) | instid1(VALU_DEP_2)
	v_lshlrev_b64_e32 v[2:3], 2, v[12:13]
	v_mov_b32_e32 v15, v13
	v_add_co_u32 v2, s0, s4, v2
	s_wait_alu 0xf1ff
	s_delay_alu instid0(VALU_DEP_3) | instskip(SKIP_2) | instid1(VALU_DEP_1)
	v_add_co_ci_u32_e64 v3, s0, s5, v3, s0
	global_load_b32 v12, v[2:3], off offset:1920
	v_lshlrev_b64_e32 v[2:3], 2, v[14:15]
	v_add_co_u32 v2, s0, s4, v2
	s_wait_alu 0xf1ff
	s_delay_alu instid0(VALU_DEP_2)
	v_add_co_ci_u32_e64 v3, s0, s5, v3, s0
	s_add_nc_u64 s[0:1], s[4:5], 0x780
	global_load_b32 v13, v[2:3], off offset:1920
	s_wait_alu 0xfffe
	v_add_co_u32 v2, s0, s0, v0
	s_wait_alu 0xf1ff
	v_add_co_ci_u32_e64 v3, s0, s1, v1, s0
	s_mov_b32 s1, exec_lo
	s_clause 0x1
	global_load_b32 v14, v[2:3], off offset:528
	global_load_b32 v15, v[2:3], off offset:704
	ds_store_b16 v25, v5 offset:2
	ds_store_b32 v4, v6 offset:1936
	ds_load_b32 v5, v4 offset:1760
	ds_load_b32 v6, v7
	s_wait_dscnt 0x0
	v_pk_add_f16 v9, v6, v5 neg_lo:[0,1] neg_hi:[0,1]
	v_pk_add_f16 v5, v6, v5
	s_delay_alu instid0(VALU_DEP_1) | instskip(SKIP_1) | instid1(VALU_DEP_2)
	v_bfi_b32 v6, 0xffff, v9, v5
	v_bfi_b32 v5, 0xffff, v5, v9
	v_pk_mul_f16 v6, v6, 0.5 op_sel_hi:[1,0]
	s_delay_alu instid0(VALU_DEP_2) | instskip(SKIP_1) | instid1(VALU_DEP_1)
	v_pk_mul_f16 v5, v5, 0.5 op_sel_hi:[1,0]
	s_wait_loadcnt 0x3
	v_pk_fma_f16 v9, v12, v6, v5 op_sel:[1,0,0]
	v_pk_mul_f16 v16, v12, v6 op_sel_hi:[0,1]
	v_pk_fma_f16 v17, v12, v6, v5 op_sel:[1,0,0] neg_lo:[1,0,0] neg_hi:[1,0,0]
	v_pk_fma_f16 v5, v12, v6, v5 op_sel:[1,0,0] neg_lo:[0,0,1] neg_hi:[0,0,1]
	s_delay_alu instid0(VALU_DEP_3) | instskip(SKIP_1) | instid1(VALU_DEP_4)
	v_pk_add_f16 v6, v9, v16 op_sel:[0,1] op_sel_hi:[1,0]
	v_pk_add_f16 v9, v9, v16 op_sel:[0,1] op_sel_hi:[1,0] neg_lo:[0,1] neg_hi:[0,1]
	v_pk_add_f16 v12, v17, v16 op_sel:[0,1] op_sel_hi:[1,0] neg_lo:[0,1] neg_hi:[0,1]
	s_delay_alu instid0(VALU_DEP_4) | instskip(NEXT) | instid1(VALU_DEP_3)
	v_pk_add_f16 v5, v5, v16 op_sel:[0,1] op_sel_hi:[1,0] neg_lo:[0,1] neg_hi:[0,1]
	v_bfi_b32 v6, 0xffff, v6, v9
	s_delay_alu instid0(VALU_DEP_2)
	v_bfi_b32 v5, 0xffff, v12, v5
	ds_store_b32 v7, v6
	ds_store_b32 v4, v5 offset:1760
	ds_load_b32 v5, v27
	ds_load_b32 v6, v4 offset:1584
	s_wait_dscnt 0x0
	v_pk_add_f16 v7, v5, v6 neg_lo:[0,1] neg_hi:[0,1]
	v_pk_add_f16 v5, v5, v6
	s_delay_alu instid0(VALU_DEP_1) | instskip(SKIP_1) | instid1(VALU_DEP_2)
	v_bfi_b32 v6, 0xffff, v7, v5
	v_bfi_b32 v5, 0xffff, v5, v7
	v_pk_mul_f16 v6, v6, 0.5 op_sel_hi:[1,0]
	s_delay_alu instid0(VALU_DEP_2) | instskip(SKIP_1) | instid1(VALU_DEP_2)
	v_pk_mul_f16 v5, v5, 0.5 op_sel_hi:[1,0]
	s_wait_loadcnt 0x2
	v_pk_mul_f16 v9, v13, v6 op_sel_hi:[0,1]
	s_delay_alu instid0(VALU_DEP_2) | instskip(SKIP_2) | instid1(VALU_DEP_3)
	v_pk_fma_f16 v7, v13, v6, v5 op_sel:[1,0,0]
	v_pk_fma_f16 v12, v13, v6, v5 op_sel:[1,0,0] neg_lo:[1,0,0] neg_hi:[1,0,0]
	v_pk_fma_f16 v5, v13, v6, v5 op_sel:[1,0,0] neg_lo:[0,0,1] neg_hi:[0,0,1]
	v_pk_add_f16 v6, v7, v9 op_sel:[0,1] op_sel_hi:[1,0]
	v_pk_add_f16 v7, v7, v9 op_sel:[0,1] op_sel_hi:[1,0] neg_lo:[0,1] neg_hi:[0,1]
	s_delay_alu instid0(VALU_DEP_4) | instskip(NEXT) | instid1(VALU_DEP_4)
	v_pk_add_f16 v12, v12, v9 op_sel:[0,1] op_sel_hi:[1,0] neg_lo:[0,1] neg_hi:[0,1]
	v_pk_add_f16 v5, v5, v9 op_sel:[0,1] op_sel_hi:[1,0] neg_lo:[0,1] neg_hi:[0,1]
	s_delay_alu instid0(VALU_DEP_3) | instskip(NEXT) | instid1(VALU_DEP_2)
	v_bfi_b32 v6, 0xffff, v6, v7
	v_bfi_b32 v5, 0xffff, v12, v5
	ds_store_b32 v27, v6
	ds_store_b32 v4, v5 offset:1584
	ds_load_b32 v5, v25 offset:528
	ds_load_b32 v6, v4 offset:1408
	s_wait_dscnt 0x0
	v_pk_add_f16 v7, v5, v6 neg_lo:[0,1] neg_hi:[0,1]
	v_pk_add_f16 v5, v5, v6
	s_delay_alu instid0(VALU_DEP_1) | instskip(SKIP_1) | instid1(VALU_DEP_2)
	v_bfi_b32 v6, 0xffff, v7, v5
	v_bfi_b32 v5, 0xffff, v5, v7
	v_pk_mul_f16 v6, v6, 0.5 op_sel_hi:[1,0]
	s_delay_alu instid0(VALU_DEP_2) | instskip(SKIP_1) | instid1(VALU_DEP_2)
	v_pk_mul_f16 v5, v5, 0.5 op_sel_hi:[1,0]
	s_wait_loadcnt 0x1
	v_pk_mul_f16 v9, v14, v6 op_sel_hi:[0,1]
	s_delay_alu instid0(VALU_DEP_2) | instskip(SKIP_2) | instid1(VALU_DEP_3)
	v_pk_fma_f16 v7, v14, v6, v5 op_sel:[1,0,0]
	v_pk_fma_f16 v12, v14, v6, v5 op_sel:[1,0,0] neg_lo:[1,0,0] neg_hi:[1,0,0]
	v_pk_fma_f16 v5, v14, v6, v5 op_sel:[1,0,0] neg_lo:[0,0,1] neg_hi:[0,0,1]
	v_pk_add_f16 v6, v7, v9 op_sel:[0,1] op_sel_hi:[1,0]
	v_pk_add_f16 v7, v7, v9 op_sel:[0,1] op_sel_hi:[1,0] neg_lo:[0,1] neg_hi:[0,1]
	s_delay_alu instid0(VALU_DEP_4) | instskip(NEXT) | instid1(VALU_DEP_4)
	v_pk_add_f16 v12, v12, v9 op_sel:[0,1] op_sel_hi:[1,0] neg_lo:[0,1] neg_hi:[0,1]
	v_pk_add_f16 v5, v5, v9 op_sel:[0,1] op_sel_hi:[1,0] neg_lo:[0,1] neg_hi:[0,1]
	s_delay_alu instid0(VALU_DEP_3) | instskip(NEXT) | instid1(VALU_DEP_2)
	v_bfi_b32 v6, 0xffff, v6, v7
	v_bfi_b32 v5, 0xffff, v12, v5
	ds_store_b32 v25, v6 offset:528
	ds_store_b32 v4, v5 offset:1408
	ds_load_b32 v5, v25 offset:704
	ds_load_b32 v6, v4 offset:1232
	s_wait_dscnt 0x0
	v_pk_add_f16 v7, v5, v6 neg_lo:[0,1] neg_hi:[0,1]
	v_pk_add_f16 v5, v5, v6
	s_delay_alu instid0(VALU_DEP_1) | instskip(SKIP_1) | instid1(VALU_DEP_2)
	v_bfi_b32 v6, 0xffff, v7, v5
	v_bfi_b32 v5, 0xffff, v5, v7
	v_pk_mul_f16 v6, v6, 0.5 op_sel_hi:[1,0]
	s_delay_alu instid0(VALU_DEP_2) | instskip(SKIP_1) | instid1(VALU_DEP_2)
	v_pk_mul_f16 v5, v5, 0.5 op_sel_hi:[1,0]
	s_wait_loadcnt 0x0
	v_pk_mul_f16 v9, v15, v6 op_sel_hi:[0,1]
	s_delay_alu instid0(VALU_DEP_2) | instskip(SKIP_2) | instid1(VALU_DEP_3)
	v_pk_fma_f16 v7, v15, v6, v5 op_sel:[1,0,0]
	v_pk_fma_f16 v12, v15, v6, v5 op_sel:[1,0,0] neg_lo:[1,0,0] neg_hi:[1,0,0]
	v_pk_fma_f16 v5, v15, v6, v5 op_sel:[1,0,0] neg_lo:[0,0,1] neg_hi:[0,0,1]
	v_pk_add_f16 v6, v7, v9 op_sel:[0,1] op_sel_hi:[1,0]
	v_pk_add_f16 v7, v7, v9 op_sel:[0,1] op_sel_hi:[1,0] neg_lo:[0,1] neg_hi:[0,1]
	s_delay_alu instid0(VALU_DEP_4) | instskip(NEXT) | instid1(VALU_DEP_4)
	v_pk_add_f16 v12, v12, v9 op_sel:[0,1] op_sel_hi:[1,0] neg_lo:[0,1] neg_hi:[0,1]
	v_pk_add_f16 v5, v5, v9 op_sel:[0,1] op_sel_hi:[1,0] neg_lo:[0,1] neg_hi:[0,1]
	s_delay_alu instid0(VALU_DEP_3) | instskip(NEXT) | instid1(VALU_DEP_2)
	v_bfi_b32 v6, 0xffff, v6, v7
	v_bfi_b32 v5, 0xffff, v12, v5
	ds_store_b32 v25, v6 offset:704
	ds_store_b32 v4, v5 offset:1232
	v_cmpx_gt_u32_e32 22, v8
	s_cbranch_execz .LBB0_21
; %bb.20:
	global_load_b32 v2, v[2:3], off offset:880
	ds_load_b32 v3, v25 offset:880
	ds_load_b32 v5, v4 offset:1056
	s_wait_dscnt 0x0
	v_pk_add_f16 v6, v3, v5 neg_lo:[0,1] neg_hi:[0,1]
	v_pk_add_f16 v3, v3, v5
	s_delay_alu instid0(VALU_DEP_1) | instskip(SKIP_1) | instid1(VALU_DEP_2)
	v_bfi_b32 v5, 0xffff, v6, v3
	v_bfi_b32 v3, 0xffff, v3, v6
	v_pk_mul_f16 v5, v5, 0.5 op_sel_hi:[1,0]
	s_delay_alu instid0(VALU_DEP_2) | instskip(SKIP_1) | instid1(VALU_DEP_1)
	v_pk_mul_f16 v3, v3, 0.5 op_sel_hi:[1,0]
	s_wait_loadcnt 0x0
	v_pk_fma_f16 v6, v2, v5, v3 op_sel:[1,0,0]
	v_pk_mul_f16 v7, v2, v5 op_sel_hi:[0,1]
	v_pk_fma_f16 v9, v2, v5, v3 op_sel:[1,0,0] neg_lo:[1,0,0] neg_hi:[1,0,0]
	v_pk_fma_f16 v2, v2, v5, v3 op_sel:[1,0,0] neg_lo:[0,0,1] neg_hi:[0,0,1]
	s_delay_alu instid0(VALU_DEP_3) | instskip(SKIP_1) | instid1(VALU_DEP_4)
	v_pk_add_f16 v3, v6, v7 op_sel:[0,1] op_sel_hi:[1,0]
	v_pk_add_f16 v5, v6, v7 op_sel:[0,1] op_sel_hi:[1,0] neg_lo:[0,1] neg_hi:[0,1]
	v_pk_add_f16 v6, v9, v7 op_sel:[0,1] op_sel_hi:[1,0] neg_lo:[0,1] neg_hi:[0,1]
	s_delay_alu instid0(VALU_DEP_4) | instskip(NEXT) | instid1(VALU_DEP_3)
	v_pk_add_f16 v2, v2, v7 op_sel:[0,1] op_sel_hi:[1,0] neg_lo:[0,1] neg_hi:[0,1]
	v_bfi_b32 v3, 0xffff, v3, v5
	s_delay_alu instid0(VALU_DEP_2)
	v_bfi_b32 v2, 0xffff, v6, v2
	ds_store_b32 v25, v3 offset:880
	ds_store_b32 v4, v2 offset:1056
.LBB0_21:
	s_wait_alu 0xfffe
	s_or_b32 exec_lo, exec_lo, s1
	global_wb scope:SCOPE_SE
	s_wait_dscnt 0x0
	s_barrier_signal -1
	s_barrier_wait -1
	global_inv scope:SCOPE_SE
	s_and_saveexec_b32 s0, vcc_lo
	s_cbranch_execz .LBB0_24
; %bb.22:
	v_add_nc_u32_e32 v2, 0x400, v25
	ds_load_2addr_b32 v[4:5], v25 offset1:44
	ds_load_2addr_b32 v[6:7], v25 offset0:88 offset1:132
	ds_load_2addr_b32 v[12:13], v25 offset0:176 offset1:220
	ds_load_b32 v9, v25 offset:1760
	ds_load_2addr_b32 v[14:15], v2 offset0:8 offset1:52
	ds_load_2addr_b32 v[16:17], v2 offset0:96 offset1:140
	v_add_co_u32 v2, vcc_lo, s8, v10
	s_wait_alu 0xfffd
	v_add_co_ci_u32_e32 v3, vcc_lo, s9, v11, vcc_lo
	s_delay_alu instid0(VALU_DEP_2) | instskip(SKIP_1) | instid1(VALU_DEP_2)
	v_add_co_u32 v0, vcc_lo, v2, v0
	s_wait_alu 0xfffd
	v_add_co_ci_u32_e32 v1, vcc_lo, v3, v1, vcc_lo
	v_cmp_eq_u32_e32 vcc_lo, 43, v8
	s_wait_dscnt 0x5
	s_clause 0x1
	global_store_b32 v[0:1], v4, off
	global_store_b32 v[0:1], v5, off offset:176
	s_wait_dscnt 0x4
	s_clause 0x1
	global_store_b32 v[0:1], v6, off offset:352
	global_store_b32 v[0:1], v7, off offset:528
	s_wait_dscnt 0x3
	s_clause 0x1
	global_store_b32 v[0:1], v12, off offset:704
	;; [unrolled: 4-line block ×4, first 2 shown]
	global_store_b32 v[0:1], v17, off offset:1584
	global_store_b32 v[0:1], v9, off offset:1760
	s_and_b32 exec_lo, exec_lo, vcc_lo
	s_cbranch_execz .LBB0_24
; %bb.23:
	v_mov_b32_e32 v0, 0
	ds_load_b32 v0, v0 offset:1936
	s_wait_dscnt 0x0
	global_store_b32 v[2:3], v0, off offset:1936
.LBB0_24:
	s_nop 0
	s_sendmsg sendmsg(MSG_DEALLOC_VGPRS)
	s_endpgm
	.section	.rodata,"a",@progbits
	.p2align	6, 0x0
	.amdhsa_kernel fft_rtc_fwd_len484_factors_4_11_11_wgs_44_tpt_44_half_ip_CI_unitstride_sbrr_R2C_dirReg
		.amdhsa_group_segment_fixed_size 0
		.amdhsa_private_segment_fixed_size 0
		.amdhsa_kernarg_size 88
		.amdhsa_user_sgpr_count 2
		.amdhsa_user_sgpr_dispatch_ptr 0
		.amdhsa_user_sgpr_queue_ptr 0
		.amdhsa_user_sgpr_kernarg_segment_ptr 1
		.amdhsa_user_sgpr_dispatch_id 0
		.amdhsa_user_sgpr_private_segment_size 0
		.amdhsa_wavefront_size32 1
		.amdhsa_uses_dynamic_stack 0
		.amdhsa_enable_private_segment 0
		.amdhsa_system_sgpr_workgroup_id_x 1
		.amdhsa_system_sgpr_workgroup_id_y 0
		.amdhsa_system_sgpr_workgroup_id_z 0
		.amdhsa_system_sgpr_workgroup_info 0
		.amdhsa_system_vgpr_workitem_id 0
		.amdhsa_next_free_vgpr 131
		.amdhsa_next_free_sgpr 32
		.amdhsa_reserve_vcc 1
		.amdhsa_float_round_mode_32 0
		.amdhsa_float_round_mode_16_64 0
		.amdhsa_float_denorm_mode_32 3
		.amdhsa_float_denorm_mode_16_64 3
		.amdhsa_fp16_overflow 0
		.amdhsa_workgroup_processor_mode 1
		.amdhsa_memory_ordered 1
		.amdhsa_forward_progress 0
		.amdhsa_round_robin_scheduling 0
		.amdhsa_exception_fp_ieee_invalid_op 0
		.amdhsa_exception_fp_denorm_src 0
		.amdhsa_exception_fp_ieee_div_zero 0
		.amdhsa_exception_fp_ieee_overflow 0
		.amdhsa_exception_fp_ieee_underflow 0
		.amdhsa_exception_fp_ieee_inexact 0
		.amdhsa_exception_int_div_zero 0
	.end_amdhsa_kernel
	.text
.Lfunc_end0:
	.size	fft_rtc_fwd_len484_factors_4_11_11_wgs_44_tpt_44_half_ip_CI_unitstride_sbrr_R2C_dirReg, .Lfunc_end0-fft_rtc_fwd_len484_factors_4_11_11_wgs_44_tpt_44_half_ip_CI_unitstride_sbrr_R2C_dirReg
                                        ; -- End function
	.section	.AMDGPU.csdata,"",@progbits
; Kernel info:
; codeLenInByte = 9384
; NumSgprs: 34
; NumVgprs: 131
; ScratchSize: 0
; MemoryBound: 0
; FloatMode: 240
; IeeeMode: 1
; LDSByteSize: 0 bytes/workgroup (compile time only)
; SGPRBlocks: 4
; VGPRBlocks: 16
; NumSGPRsForWavesPerEU: 34
; NumVGPRsForWavesPerEU: 131
; Occupancy: 10
; WaveLimiterHint : 1
; COMPUTE_PGM_RSRC2:SCRATCH_EN: 0
; COMPUTE_PGM_RSRC2:USER_SGPR: 2
; COMPUTE_PGM_RSRC2:TRAP_HANDLER: 0
; COMPUTE_PGM_RSRC2:TGID_X_EN: 1
; COMPUTE_PGM_RSRC2:TGID_Y_EN: 0
; COMPUTE_PGM_RSRC2:TGID_Z_EN: 0
; COMPUTE_PGM_RSRC2:TIDIG_COMP_CNT: 0
	.text
	.p2alignl 7, 3214868480
	.fill 96, 4, 3214868480
	.type	__hip_cuid_d60f9f056e824e5e,@object ; @__hip_cuid_d60f9f056e824e5e
	.section	.bss,"aw",@nobits
	.globl	__hip_cuid_d60f9f056e824e5e
__hip_cuid_d60f9f056e824e5e:
	.byte	0                               ; 0x0
	.size	__hip_cuid_d60f9f056e824e5e, 1

	.ident	"AMD clang version 19.0.0git (https://github.com/RadeonOpenCompute/llvm-project roc-6.4.0 25133 c7fe45cf4b819c5991fe208aaa96edf142730f1d)"
	.section	".note.GNU-stack","",@progbits
	.addrsig
	.addrsig_sym __hip_cuid_d60f9f056e824e5e
	.amdgpu_metadata
---
amdhsa.kernels:
  - .args:
      - .actual_access:  read_only
        .address_space:  global
        .offset:         0
        .size:           8
        .value_kind:     global_buffer
      - .offset:         8
        .size:           8
        .value_kind:     by_value
      - .actual_access:  read_only
        .address_space:  global
        .offset:         16
        .size:           8
        .value_kind:     global_buffer
      - .actual_access:  read_only
        .address_space:  global
        .offset:         24
        .size:           8
        .value_kind:     global_buffer
      - .offset:         32
        .size:           8
        .value_kind:     by_value
      - .actual_access:  read_only
        .address_space:  global
        .offset:         40
        .size:           8
        .value_kind:     global_buffer
      - .actual_access:  read_only
        .address_space:  global
        .offset:         48
        .size:           8
        .value_kind:     global_buffer
      - .offset:         56
        .size:           4
        .value_kind:     by_value
      - .actual_access:  read_only
        .address_space:  global
        .offset:         64
        .size:           8
        .value_kind:     global_buffer
      - .actual_access:  read_only
        .address_space:  global
        .offset:         72
        .size:           8
        .value_kind:     global_buffer
      - .address_space:  global
        .offset:         80
        .size:           8
        .value_kind:     global_buffer
    .group_segment_fixed_size: 0
    .kernarg_segment_align: 8
    .kernarg_segment_size: 88
    .language:       OpenCL C
    .language_version:
      - 2
      - 0
    .max_flat_workgroup_size: 44
    .name:           fft_rtc_fwd_len484_factors_4_11_11_wgs_44_tpt_44_half_ip_CI_unitstride_sbrr_R2C_dirReg
    .private_segment_fixed_size: 0
    .sgpr_count:     34
    .sgpr_spill_count: 0
    .symbol:         fft_rtc_fwd_len484_factors_4_11_11_wgs_44_tpt_44_half_ip_CI_unitstride_sbrr_R2C_dirReg.kd
    .uniform_work_group_size: 1
    .uses_dynamic_stack: false
    .vgpr_count:     131
    .vgpr_spill_count: 0
    .wavefront_size: 32
    .workgroup_processor_mode: 1
amdhsa.target:   amdgcn-amd-amdhsa--gfx1201
amdhsa.version:
  - 1
  - 2
...

	.end_amdgpu_metadata
